;; amdgpu-corpus repo=ROCm/rocFFT kind=compiled arch=gfx1030 opt=O3
	.text
	.amdgcn_target "amdgcn-amd-amdhsa--gfx1030"
	.amdhsa_code_object_version 6
	.protected	fft_rtc_back_len1210_factors_2_5_11_11_wgs_110_tpt_110_halfLds_dp_ip_CI_unitstride_sbrr_C2R_dirReg ; -- Begin function fft_rtc_back_len1210_factors_2_5_11_11_wgs_110_tpt_110_halfLds_dp_ip_CI_unitstride_sbrr_C2R_dirReg
	.globl	fft_rtc_back_len1210_factors_2_5_11_11_wgs_110_tpt_110_halfLds_dp_ip_CI_unitstride_sbrr_C2R_dirReg
	.p2align	8
	.type	fft_rtc_back_len1210_factors_2_5_11_11_wgs_110_tpt_110_halfLds_dp_ip_CI_unitstride_sbrr_C2R_dirReg,@function
fft_rtc_back_len1210_factors_2_5_11_11_wgs_110_tpt_110_halfLds_dp_ip_CI_unitstride_sbrr_C2R_dirReg: ; @fft_rtc_back_len1210_factors_2_5_11_11_wgs_110_tpt_110_halfLds_dp_ip_CI_unitstride_sbrr_C2R_dirReg
; %bb.0:
	s_clause 0x2
	s_load_dwordx4 s[8:11], s[4:5], 0x0
	s_load_dwordx2 s[2:3], s[4:5], 0x50
	s_load_dwordx2 s[12:13], s[4:5], 0x18
	v_mul_u32_u24_e32 v1, 0x254, v0
	v_mov_b32_e32 v3, 0
	v_add_nc_u32_sdwa v5, s6, v1 dst_sel:DWORD dst_unused:UNUSED_PAD src0_sel:DWORD src1_sel:WORD_1
	v_mov_b32_e32 v1, 0
	v_mov_b32_e32 v6, v3
	v_mov_b32_e32 v2, 0
	s_waitcnt lgkmcnt(0)
	v_cmp_lt_u64_e64 s0, s[10:11], 2
	s_and_b32 vcc_lo, exec_lo, s0
	s_cbranch_vccnz .LBB0_8
; %bb.1:
	s_load_dwordx2 s[0:1], s[4:5], 0x10
	v_mov_b32_e32 v1, 0
	s_add_u32 s6, s12, 8
	v_mov_b32_e32 v2, 0
	s_addc_u32 s7, s13, 0
	s_mov_b64 s[16:17], 1
	s_waitcnt lgkmcnt(0)
	s_add_u32 s14, s0, 8
	s_addc_u32 s15, s1, 0
.LBB0_2:                                ; =>This Inner Loop Header: Depth=1
	s_load_dwordx2 s[18:19], s[14:15], 0x0
                                        ; implicit-def: $vgpr7_vgpr8
	s_mov_b32 s0, exec_lo
	s_waitcnt lgkmcnt(0)
	v_or_b32_e32 v4, s19, v6
	v_cmpx_ne_u64_e32 0, v[3:4]
	s_xor_b32 s1, exec_lo, s0
	s_cbranch_execz .LBB0_4
; %bb.3:                                ;   in Loop: Header=BB0_2 Depth=1
	v_cvt_f32_u32_e32 v4, s18
	v_cvt_f32_u32_e32 v7, s19
	s_sub_u32 s0, 0, s18
	s_subb_u32 s20, 0, s19
	v_fmac_f32_e32 v4, 0x4f800000, v7
	v_rcp_f32_e32 v4, v4
	v_mul_f32_e32 v4, 0x5f7ffffc, v4
	v_mul_f32_e32 v7, 0x2f800000, v4
	v_trunc_f32_e32 v7, v7
	v_fmac_f32_e32 v4, 0xcf800000, v7
	v_cvt_u32_f32_e32 v7, v7
	v_cvt_u32_f32_e32 v4, v4
	v_mul_lo_u32 v8, s0, v7
	v_mul_hi_u32 v9, s0, v4
	v_mul_lo_u32 v10, s20, v4
	v_add_nc_u32_e32 v8, v9, v8
	v_mul_lo_u32 v9, s0, v4
	v_add_nc_u32_e32 v8, v8, v10
	v_mul_hi_u32 v10, v4, v9
	v_mul_lo_u32 v11, v4, v8
	v_mul_hi_u32 v12, v4, v8
	v_mul_hi_u32 v13, v7, v9
	v_mul_lo_u32 v9, v7, v9
	v_mul_hi_u32 v14, v7, v8
	v_mul_lo_u32 v8, v7, v8
	v_add_co_u32 v10, vcc_lo, v10, v11
	v_add_co_ci_u32_e32 v11, vcc_lo, 0, v12, vcc_lo
	v_add_co_u32 v9, vcc_lo, v10, v9
	v_add_co_ci_u32_e32 v9, vcc_lo, v11, v13, vcc_lo
	v_add_co_ci_u32_e32 v10, vcc_lo, 0, v14, vcc_lo
	v_add_co_u32 v8, vcc_lo, v9, v8
	v_add_co_ci_u32_e32 v9, vcc_lo, 0, v10, vcc_lo
	v_add_co_u32 v4, vcc_lo, v4, v8
	v_add_co_ci_u32_e32 v7, vcc_lo, v7, v9, vcc_lo
	v_mul_hi_u32 v8, s0, v4
	v_mul_lo_u32 v10, s20, v4
	v_mul_lo_u32 v9, s0, v7
	v_add_nc_u32_e32 v8, v8, v9
	v_mul_lo_u32 v9, s0, v4
	v_add_nc_u32_e32 v8, v8, v10
	v_mul_hi_u32 v10, v4, v9
	v_mul_lo_u32 v11, v4, v8
	v_mul_hi_u32 v12, v4, v8
	v_mul_hi_u32 v13, v7, v9
	v_mul_lo_u32 v9, v7, v9
	v_mul_hi_u32 v14, v7, v8
	v_mul_lo_u32 v8, v7, v8
	v_add_co_u32 v10, vcc_lo, v10, v11
	v_add_co_ci_u32_e32 v11, vcc_lo, 0, v12, vcc_lo
	v_add_co_u32 v9, vcc_lo, v10, v9
	v_add_co_ci_u32_e32 v9, vcc_lo, v11, v13, vcc_lo
	v_add_co_ci_u32_e32 v10, vcc_lo, 0, v14, vcc_lo
	v_add_co_u32 v8, vcc_lo, v9, v8
	v_add_co_ci_u32_e32 v9, vcc_lo, 0, v10, vcc_lo
	v_add_co_u32 v4, vcc_lo, v4, v8
	v_add_co_ci_u32_e32 v11, vcc_lo, v7, v9, vcc_lo
	v_mul_hi_u32 v13, v5, v4
	v_mad_u64_u32 v[9:10], null, v6, v4, 0
	v_mad_u64_u32 v[7:8], null, v5, v11, 0
	;; [unrolled: 1-line block ×3, first 2 shown]
	v_add_co_u32 v4, vcc_lo, v13, v7
	v_add_co_ci_u32_e32 v7, vcc_lo, 0, v8, vcc_lo
	v_add_co_u32 v4, vcc_lo, v4, v9
	v_add_co_ci_u32_e32 v4, vcc_lo, v7, v10, vcc_lo
	v_add_co_ci_u32_e32 v7, vcc_lo, 0, v12, vcc_lo
	v_add_co_u32 v4, vcc_lo, v4, v11
	v_add_co_ci_u32_e32 v9, vcc_lo, 0, v7, vcc_lo
	v_mul_lo_u32 v10, s19, v4
	v_mad_u64_u32 v[7:8], null, s18, v4, 0
	v_mul_lo_u32 v11, s18, v9
	v_sub_co_u32 v7, vcc_lo, v5, v7
	v_add3_u32 v8, v8, v11, v10
	v_sub_nc_u32_e32 v10, v6, v8
	v_subrev_co_ci_u32_e64 v10, s0, s19, v10, vcc_lo
	v_add_co_u32 v11, s0, v4, 2
	v_add_co_ci_u32_e64 v12, s0, 0, v9, s0
	v_sub_co_u32 v13, s0, v7, s18
	v_sub_co_ci_u32_e32 v8, vcc_lo, v6, v8, vcc_lo
	v_subrev_co_ci_u32_e64 v10, s0, 0, v10, s0
	v_cmp_le_u32_e32 vcc_lo, s18, v13
	v_cmp_eq_u32_e64 s0, s19, v8
	v_cndmask_b32_e64 v13, 0, -1, vcc_lo
	v_cmp_le_u32_e32 vcc_lo, s19, v10
	v_cndmask_b32_e64 v14, 0, -1, vcc_lo
	v_cmp_le_u32_e32 vcc_lo, s18, v7
	;; [unrolled: 2-line block ×3, first 2 shown]
	v_cndmask_b32_e64 v15, 0, -1, vcc_lo
	v_cmp_eq_u32_e32 vcc_lo, s19, v10
	v_cndmask_b32_e64 v7, v15, v7, s0
	v_cndmask_b32_e32 v10, v14, v13, vcc_lo
	v_add_co_u32 v13, vcc_lo, v4, 1
	v_add_co_ci_u32_e32 v14, vcc_lo, 0, v9, vcc_lo
	v_cmp_ne_u32_e32 vcc_lo, 0, v10
	v_cndmask_b32_e32 v8, v14, v12, vcc_lo
	v_cndmask_b32_e32 v10, v13, v11, vcc_lo
	v_cmp_ne_u32_e32 vcc_lo, 0, v7
	v_cndmask_b32_e32 v8, v9, v8, vcc_lo
	v_cndmask_b32_e32 v7, v4, v10, vcc_lo
.LBB0_4:                                ;   in Loop: Header=BB0_2 Depth=1
	s_andn2_saveexec_b32 s0, s1
	s_cbranch_execz .LBB0_6
; %bb.5:                                ;   in Loop: Header=BB0_2 Depth=1
	v_cvt_f32_u32_e32 v4, s18
	s_sub_i32 s1, 0, s18
	v_rcp_iflag_f32_e32 v4, v4
	v_mul_f32_e32 v4, 0x4f7ffffe, v4
	v_cvt_u32_f32_e32 v4, v4
	v_mul_lo_u32 v7, s1, v4
	v_mul_hi_u32 v7, v4, v7
	v_add_nc_u32_e32 v4, v4, v7
	v_mul_hi_u32 v4, v5, v4
	v_mul_lo_u32 v7, v4, s18
	v_add_nc_u32_e32 v8, 1, v4
	v_sub_nc_u32_e32 v7, v5, v7
	v_subrev_nc_u32_e32 v9, s18, v7
	v_cmp_le_u32_e32 vcc_lo, s18, v7
	v_cndmask_b32_e32 v7, v7, v9, vcc_lo
	v_cndmask_b32_e32 v4, v4, v8, vcc_lo
	v_cmp_le_u32_e32 vcc_lo, s18, v7
	v_add_nc_u32_e32 v8, 1, v4
	v_cndmask_b32_e32 v7, v4, v8, vcc_lo
	v_mov_b32_e32 v8, v3
.LBB0_6:                                ;   in Loop: Header=BB0_2 Depth=1
	s_or_b32 exec_lo, exec_lo, s0
	s_load_dwordx2 s[0:1], s[6:7], 0x0
	v_mul_lo_u32 v4, v8, s18
	v_mul_lo_u32 v11, v7, s19
	v_mad_u64_u32 v[9:10], null, v7, s18, 0
	s_add_u32 s16, s16, 1
	s_addc_u32 s17, s17, 0
	s_add_u32 s6, s6, 8
	s_addc_u32 s7, s7, 0
	;; [unrolled: 2-line block ×3, first 2 shown]
	v_add3_u32 v4, v10, v11, v4
	v_sub_co_u32 v5, vcc_lo, v5, v9
	v_sub_co_ci_u32_e32 v4, vcc_lo, v6, v4, vcc_lo
	s_waitcnt lgkmcnt(0)
	v_mul_lo_u32 v6, s1, v5
	v_mul_lo_u32 v4, s0, v4
	v_mad_u64_u32 v[1:2], null, s0, v5, v[1:2]
	v_cmp_ge_u64_e64 s0, s[16:17], s[10:11]
	s_and_b32 vcc_lo, exec_lo, s0
	v_add3_u32 v2, v6, v2, v4
	s_cbranch_vccnz .LBB0_9
; %bb.7:                                ;   in Loop: Header=BB0_2 Depth=1
	v_mov_b32_e32 v5, v7
	v_mov_b32_e32 v6, v8
	s_branch .LBB0_2
.LBB0_8:
	v_mov_b32_e32 v8, v6
	v_mov_b32_e32 v7, v5
.LBB0_9:
	s_lshl_b64 s[0:1], s[10:11], 3
	v_mul_hi_u32 v5, 0x253c826, v0
	s_add_u32 s0, s12, s0
	s_addc_u32 s1, s13, s1
	s_load_dwordx2 s[0:1], s[0:1], 0x0
	s_load_dwordx2 s[4:5], s[4:5], 0x20
	s_waitcnt lgkmcnt(0)
	v_mul_lo_u32 v3, s0, v8
	v_mul_lo_u32 v4, s1, v7
	v_mad_u64_u32 v[1:2], null, s0, v7, v[1:2]
	v_cmp_gt_u64_e32 vcc_lo, s[4:5], v[7:8]
	v_add3_u32 v2, v4, v2, v3
	v_mul_u32_u24_e32 v3, 0x6e, v5
	v_lshlrev_b64 v[86:87], 4, v[1:2]
	v_sub_nc_u32_e32 v84, v0, v3
	s_and_saveexec_b32 s1, vcc_lo
	s_cbranch_execz .LBB0_13
; %bb.10:
	v_mov_b32_e32 v85, 0
	v_add_co_u32 v0, s0, s2, v86
	v_add_co_ci_u32_e64 v1, s0, s3, v87, s0
	v_lshlrev_b64 v[2:3], 4, v[84:85]
	v_lshl_add_u32 v46, v84, 4, 0
	s_mov_b32 s4, exec_lo
	v_add_co_u32 v26, s0, v0, v2
	v_add_co_ci_u32_e64 v27, s0, v1, v3, s0
	v_add_co_u32 v10, s0, 0x800, v26
	v_add_co_ci_u32_e64 v11, s0, 0, v27, s0
	;; [unrolled: 2-line block ×9, first 2 shown]
	s_clause 0xa
	global_load_dwordx4 v[2:5], v[26:27], off
	global_load_dwordx4 v[6:9], v[26:27], off offset:1760
	global_load_dwordx4 v[10:13], v[10:11], off offset:1472
	;; [unrolled: 1-line block ×10, first 2 shown]
	s_waitcnt vmcnt(10)
	ds_write_b128 v46, v[2:5]
	s_waitcnt vmcnt(9)
	ds_write_b128 v46, v[6:9] offset:1760
	s_waitcnt vmcnt(8)
	ds_write_b128 v46, v[10:13] offset:3520
	;; [unrolled: 2-line block ×10, first 2 shown]
	v_cmpx_eq_u32_e32 0x6d, v84
	s_cbranch_execz .LBB0_12
; %bb.11:
	v_add_co_u32 v0, s0, 0x4800, v0
	v_add_co_ci_u32_e64 v1, s0, 0, v1, s0
	v_mov_b32_e32 v84, 0x6d
	global_load_dwordx4 v[0:3], v[0:1], off offset:928
	s_waitcnt vmcnt(0)
	ds_write_b128 v85, v[0:3] offset:19360
.LBB0_12:
	s_or_b32 exec_lo, exec_lo, s4
.LBB0_13:
	s_or_b32 exec_lo, exec_lo, s1
	v_lshlrev_b32_e32 v0, 4, v84
	s_waitcnt lgkmcnt(0)
	s_barrier
	buffer_gl0_inv
	s_add_u32 s1, s8, 0x4b80
	v_add_nc_u32_e32 v88, 0, v0
	v_sub_nc_u32_e32 v10, 0, v0
	s_addc_u32 s4, s9, 0
	s_mov_b32 s5, exec_lo
                                        ; implicit-def: $vgpr4_vgpr5
	ds_read_b64 v[6:7], v88
	ds_read_b64 v[8:9], v10 offset:19360
	s_waitcnt lgkmcnt(0)
	v_add_f64 v[0:1], v[6:7], v[8:9]
	v_add_f64 v[2:3], v[6:7], -v[8:9]
	v_cmpx_ne_u32_e32 0, v84
	s_xor_b32 s5, exec_lo, s5
	s_cbranch_execz .LBB0_15
; %bb.14:
	v_mov_b32_e32 v85, 0
	v_add_f64 v[13:14], v[6:7], v[8:9]
	v_add_f64 v[15:16], v[6:7], -v[8:9]
	v_lshlrev_b64 v[0:1], 4, v[84:85]
	v_add_co_u32 v0, s0, s1, v0
	v_add_co_ci_u32_e64 v1, s0, s4, v1, s0
	global_load_dwordx4 v[2:5], v[0:1], off
	ds_read_b64 v[0:1], v10 offset:19368
	ds_read_b64 v[11:12], v88 offset:8
	s_waitcnt lgkmcnt(0)
	v_add_f64 v[6:7], v[0:1], v[11:12]
	v_add_f64 v[0:1], v[11:12], -v[0:1]
	s_waitcnt vmcnt(0)
	v_fma_f64 v[8:9], v[15:16], v[4:5], v[13:14]
	v_fma_f64 v[11:12], -v[15:16], v[4:5], v[13:14]
	v_fma_f64 v[13:14], v[6:7], v[4:5], -v[0:1]
	v_fma_f64 v[4:5], v[6:7], v[4:5], v[0:1]
	v_fma_f64 v[0:1], -v[6:7], v[2:3], v[8:9]
	v_fma_f64 v[6:7], v[6:7], v[2:3], v[11:12]
	v_fma_f64 v[8:9], v[15:16], v[2:3], v[13:14]
	;; [unrolled: 1-line block ×3, first 2 shown]
	v_mov_b32_e32 v4, v84
	v_mov_b32_e32 v5, v85
	ds_write_b128 v10, v[6:9] offset:19360
.LBB0_15:
	s_andn2_saveexec_b32 s0, s5
	s_cbranch_execz .LBB0_17
; %bb.16:
	v_mov_b32_e32 v8, 0
	ds_read_b128 v[4:7], v8 offset:9680
	s_waitcnt lgkmcnt(0)
	v_add_f64 v[11:12], v[4:5], v[4:5]
	v_mul_f64 v[13:14], v[6:7], -2.0
	v_mov_b32_e32 v4, 0
	v_mov_b32_e32 v5, 0
	ds_write_b128 v8, v[11:14] offset:9680
.LBB0_17:
	s_or_b32 exec_lo, exec_lo, s0
	v_lshlrev_b64 v[4:5], 4, v[4:5]
	ds_write_b128 v88, v[0:3]
	v_add_co_u32 v4, s0, s1, v4
	v_add_co_ci_u32_e64 v5, s0, s4, v5, s0
	v_add_co_u32 v11, s0, 0x800, v4
	global_load_dwordx4 v[6:9], v[4:5], off offset:1760
	v_add_co_ci_u32_e64 v12, s0, 0, v5, s0
	v_add_co_u32 v15, s0, 0x1000, v4
	v_add_co_ci_u32_e64 v16, s0, 0, v5, s0
	global_load_dwordx4 v[11:14], v[11:12], off offset:1472
	v_add_co_u32 v23, s0, 0x1800, v4
	global_load_dwordx4 v[15:18], v[15:16], off offset:1184
	v_add_co_ci_u32_e64 v24, s0, 0, v5, s0
	ds_read_b128 v[0:3], v88 offset:1760
	ds_read_b128 v[19:22], v10 offset:17600
	v_cmp_gt_u32_e64 s0, 55, v84
	global_load_dwordx4 v[23:26], v[23:24], off offset:896
	s_waitcnt lgkmcnt(0)
	v_add_f64 v[27:28], v[0:1], v[19:20]
	v_add_f64 v[29:30], v[21:22], v[2:3]
	v_add_f64 v[31:32], v[0:1], -v[19:20]
	v_add_f64 v[0:1], v[2:3], -v[21:22]
	s_waitcnt vmcnt(3)
	v_fma_f64 v[2:3], v[31:32], v[8:9], v[27:28]
	v_fma_f64 v[19:20], v[29:30], v[8:9], v[0:1]
	v_fma_f64 v[21:22], -v[31:32], v[8:9], v[27:28]
	v_fma_f64 v[8:9], v[29:30], v[8:9], -v[0:1]
	v_fma_f64 v[0:1], -v[29:30], v[6:7], v[2:3]
	v_fma_f64 v[2:3], v[31:32], v[6:7], v[19:20]
	v_fma_f64 v[19:20], v[29:30], v[6:7], v[21:22]
	v_fma_f64 v[21:22], v[31:32], v[6:7], v[8:9]
	ds_write_b128 v88, v[0:3] offset:1760
	ds_write_b128 v10, v[19:22] offset:17600
	ds_read_b128 v[0:3], v88 offset:3520
	ds_read_b128 v[6:9], v10 offset:15840
	s_waitcnt lgkmcnt(0)
	v_add_f64 v[19:20], v[0:1], v[6:7]
	v_add_f64 v[21:22], v[8:9], v[2:3]
	v_add_f64 v[27:28], v[0:1], -v[6:7]
	v_add_f64 v[0:1], v[2:3], -v[8:9]
	s_waitcnt vmcnt(2)
	v_fma_f64 v[2:3], v[27:28], v[13:14], v[19:20]
	v_fma_f64 v[6:7], v[21:22], v[13:14], v[0:1]
	v_fma_f64 v[8:9], -v[27:28], v[13:14], v[19:20]
	v_fma_f64 v[13:14], v[21:22], v[13:14], -v[0:1]
	v_fma_f64 v[0:1], -v[21:22], v[11:12], v[2:3]
	v_fma_f64 v[2:3], v[27:28], v[11:12], v[6:7]
	v_fma_f64 v[6:7], v[21:22], v[11:12], v[8:9]
	v_fma_f64 v[8:9], v[27:28], v[11:12], v[13:14]
	ds_write_b128 v88, v[0:3] offset:3520
	ds_write_b128 v10, v[6:9] offset:15840
	ds_read_b128 v[0:3], v88 offset:5280
	ds_read_b128 v[6:9], v10 offset:14080
	;; [unrolled: 18-line block ×3, first 2 shown]
	s_waitcnt lgkmcnt(0)
	v_add_f64 v[11:12], v[0:1], v[6:7]
	v_add_f64 v[13:14], v[8:9], v[2:3]
	v_add_f64 v[15:16], v[0:1], -v[6:7]
	v_add_f64 v[0:1], v[2:3], -v[8:9]
	s_waitcnt vmcnt(0)
	v_fma_f64 v[2:3], v[15:16], v[25:26], v[11:12]
	v_fma_f64 v[6:7], v[13:14], v[25:26], v[0:1]
	v_fma_f64 v[8:9], -v[15:16], v[25:26], v[11:12]
	v_fma_f64 v[11:12], v[13:14], v[25:26], -v[0:1]
	v_fma_f64 v[0:1], -v[13:14], v[23:24], v[2:3]
	v_fma_f64 v[2:3], v[15:16], v[23:24], v[6:7]
	v_fma_f64 v[6:7], v[13:14], v[23:24], v[8:9]
	;; [unrolled: 1-line block ×3, first 2 shown]
	ds_write_b128 v88, v[0:3] offset:7040
	ds_write_b128 v10, v[6:9] offset:12320
	s_and_saveexec_b32 s4, s0
	s_cbranch_execz .LBB0_19
; %bb.18:
	v_add_co_u32 v0, s1, 0x2000, v4
	v_add_co_ci_u32_e64 v1, s1, 0, v5, s1
	global_load_dwordx4 v[0:3], v[0:1], off offset:608
	ds_read_b128 v[4:7], v88 offset:8800
	ds_read_b128 v[11:14], v10 offset:10560
	s_waitcnt lgkmcnt(0)
	v_add_f64 v[8:9], v[4:5], v[11:12]
	v_add_f64 v[15:16], v[13:14], v[6:7]
	v_add_f64 v[11:12], v[4:5], -v[11:12]
	v_add_f64 v[4:5], v[6:7], -v[13:14]
	s_waitcnt vmcnt(0)
	v_fma_f64 v[6:7], v[11:12], v[2:3], v[8:9]
	v_fma_f64 v[13:14], v[15:16], v[2:3], v[4:5]
	v_fma_f64 v[8:9], -v[11:12], v[2:3], v[8:9]
	v_fma_f64 v[17:18], v[15:16], v[2:3], -v[4:5]
	v_fma_f64 v[2:3], -v[15:16], v[0:1], v[6:7]
	v_fma_f64 v[4:5], v[11:12], v[0:1], v[13:14]
	v_fma_f64 v[6:7], v[15:16], v[0:1], v[8:9]
	;; [unrolled: 1-line block ×3, first 2 shown]
	ds_write_b128 v88, v[2:5] offset:8800
	ds_write_b128 v10, v[6:9] offset:10560
.LBB0_19:
	s_or_b32 exec_lo, exec_lo, s4
	s_waitcnt lgkmcnt(0)
	s_barrier
	buffer_gl0_inv
	s_barrier
	buffer_gl0_inv
	ds_read_b128 v[0:3], v88 offset:9680
	ds_read_b128 v[8:11], v88
	ds_read_b128 v[12:15], v88 offset:1760
	ds_read_b128 v[4:7], v88 offset:11440
	;; [unrolled: 1-line block ×10, first 2 shown]
	v_add_nc_u32_e32 v77, 0x6e, v84
	v_add_nc_u32_e32 v76, 0xdc, v84
	s_waitcnt lgkmcnt(0)
	s_barrier
	buffer_gl0_inv
	v_add_f64 v[48:49], v[8:9], -v[0:1]
	v_add_f64 v[50:51], v[10:11], -v[2:3]
	;; [unrolled: 1-line block ×12, first 2 shown]
	v_fma_f64 v[44:45], v[8:9], 2.0, -v[48:49]
	v_fma_f64 v[46:47], v[10:11], 2.0, -v[50:51]
	;; [unrolled: 1-line block ×12, first 2 shown]
	v_lshl_add_u32 v13, v84, 4, v88
	v_lshl_add_u32 v8, v84, 5, 0
	;; [unrolled: 1-line block ×4, first 2 shown]
	ds_write_b128 v13, v[48:51] offset:16
	ds_write_b128 v14, v[52:55] offset:16
	;; [unrolled: 1-line block ×4, first 2 shown]
	ds_write_b128 v13, v[44:47]
	ds_write_b128 v14, v[9:12]
	ds_write_b128 v15, v[20:23]
	ds_write_b128 v8, v[24:27] offset:10560
	ds_write_b128 v8, v[36:39] offset:14080
	;; [unrolled: 1-line block ×3, first 2 shown]
	s_and_saveexec_b32 s1, s0
	s_cbranch_execz .LBB0_21
; %bb.20:
	ds_write_b128 v8, v[0:3] offset:17600
	ds_write_b128 v8, v[4:7] offset:17616
.LBB0_21:
	s_or_b32 exec_lo, exec_lo, s1
	s_waitcnt lgkmcnt(0)
	s_barrier
	buffer_gl0_inv
	ds_read_b128 v[20:23], v88
	ds_read_b128 v[24:27], v88 offset:1760
	ds_read_b128 v[60:63], v88 offset:3872
	;; [unrolled: 1-line block ×9, first 2 shown]
	v_cmp_gt_u32_e64 s0, 22, v84
                                        ; implicit-def: $vgpr18_vgpr19
                                        ; implicit-def: $vgpr14_vgpr15
                                        ; implicit-def: $vgpr10_vgpr11
	s_and_saveexec_b32 s1, s0
	s_cbranch_execz .LBB0_23
; %bb.22:
	ds_read_b128 v[0:3], v88 offset:3520
	ds_read_b128 v[4:7], v88 offset:7392
	ds_read_b128 v[8:11], v88 offset:11264
	ds_read_b128 v[12:15], v88 offset:15136
	ds_read_b128 v[16:19], v88 offset:19008
.LBB0_23:
	s_or_b32 exec_lo, exec_lo, s1
	v_and_b32_e32 v78, 1, v84
	s_mov_b32 s10, 0x134454ff
	s_mov_b32 s11, 0xbfee6f0e
	;; [unrolled: 1-line block ×4, first 2 shown]
	v_lshlrev_b32_e32 v32, 6, v78
	s_mov_b32 s6, 0x4755a5e
	s_mov_b32 s7, 0xbfe2cf23
	;; [unrolled: 1-line block ×4, first 2 shown]
	s_clause 0x3
	global_load_dwordx4 v[28:31], v32, s[8:9]
	global_load_dwordx4 v[40:43], v32, s[8:9] offset:16
	global_load_dwordx4 v[36:39], v32, s[8:9] offset:32
	;; [unrolled: 1-line block ×3, first 2 shown]
	s_mov_b32 s14, 0x372fe950
	s_mov_b32 s15, 0x3fd3c6ef
	v_lshrrev_b32_e32 v83, 1, v84
	v_lshrrev_b32_e32 v77, 1, v77
	s_waitcnt vmcnt(0) lgkmcnt(0)
	s_barrier
	buffer_gl0_inv
	v_mul_u32_u24_e32 v83, 10, v83
	v_mul_u32_u24_e32 v77, 10, v77
	v_or_b32_e32 v77, v77, v78
	v_lshl_add_u32 v77, v77, 4, 0
	v_mul_f64 v[79:80], v[62:63], v[30:31]
	v_mul_f64 v[89:90], v[66:67], v[42:43]
	v_mul_f64 v[91:92], v[64:65], v[42:43]
	v_mul_f64 v[93:94], v[70:71], v[38:39]
	v_mul_f64 v[95:96], v[68:69], v[38:39]
	v_mul_f64 v[81:82], v[60:61], v[30:31]
	v_mul_f64 v[97:98], v[74:75], v[34:35]
	v_mul_f64 v[99:100], v[72:73], v[34:35]
	v_mul_f64 v[105:106], v[58:59], v[42:43]
	v_mul_f64 v[107:108], v[56:57], v[42:43]
	v_mul_f64 v[109:110], v[46:47], v[38:39]
	v_mul_f64 v[113:114], v[44:45], v[38:39]
	v_mul_f64 v[101:102], v[54:55], v[30:31]
	v_mul_f64 v[103:104], v[52:53], v[30:31]
	v_mul_f64 v[111:112], v[50:51], v[34:35]
	v_mul_f64 v[115:116], v[48:49], v[34:35]
	v_fma_f64 v[60:61], v[60:61], v[28:29], v[79:80]
	v_fma_f64 v[64:65], v[64:65], v[40:41], v[89:90]
	v_fma_f64 v[66:67], v[66:67], v[40:41], -v[91:92]
	v_fma_f64 v[68:69], v[68:69], v[36:37], v[93:94]
	v_fma_f64 v[70:71], v[70:71], v[36:37], -v[95:96]
	v_fma_f64 v[62:63], v[62:63], v[28:29], -v[81:82]
	v_fma_f64 v[72:73], v[72:73], v[32:33], v[97:98]
	v_fma_f64 v[74:75], v[74:75], v[32:33], -v[99:100]
	v_fma_f64 v[56:57], v[56:57], v[40:41], v[105:106]
	;; [unrolled: 2-line block ×5, first 2 shown]
	v_fma_f64 v[50:51], v[50:51], v[32:33], -v[115:116]
	v_add_f64 v[93:94], v[20:21], v[60:61]
	v_add_f64 v[109:110], v[60:61], -v[64:65]
	v_add_f64 v[111:112], v[64:65], -v[60:61]
	v_add_f64 v[79:80], v[64:65], v[68:69]
	v_add_f64 v[89:90], v[66:67], v[70:71]
	;; [unrolled: 1-line block ×5, first 2 shown]
	v_add_f64 v[60:61], v[60:61], -v[72:73]
	v_add_f64 v[119:120], v[62:63], -v[74:75]
	v_add_f64 v[97:98], v[56:57], v[44:45]
	v_add_f64 v[101:102], v[58:59], v[46:47]
	;; [unrolled: 1-line block ×6, first 2 shown]
	v_add_f64 v[113:114], v[64:65], -v[68:69]
	v_add_f64 v[115:116], v[72:73], -v[68:69]
	;; [unrolled: 1-line block ×9, first 2 shown]
	v_fma_f64 v[79:80], v[79:80], -0.5, v[20:21]
	v_fma_f64 v[89:90], v[89:90], -0.5, v[22:23]
	v_add_f64 v[52:53], v[52:53], -v[48:49]
	v_fma_f64 v[20:21], v[81:82], -0.5, v[20:21]
	v_fma_f64 v[22:23], v[91:92], -0.5, v[22:23]
	v_add_f64 v[133:134], v[58:59], -v[46:47]
	v_add_f64 v[81:82], v[56:57], -v[44:45]
	v_fma_f64 v[91:92], v[97:98], -0.5, v[24:25]
	v_fma_f64 v[97:98], v[101:102], -0.5, v[26:27]
	v_add_f64 v[62:63], v[66:67], -v[62:63]
	;; [unrolled: 4-line block ×3, first 2 shown]
	v_add_f64 v[54:55], v[58:59], -v[54:55]
	v_add_f64 v[143:144], v[50:51], -v[46:47]
	;; [unrolled: 1-line block ×3, first 2 shown]
	v_add_f64 v[64:65], v[93:94], v[64:65]
	v_add_f64 v[66:67], v[95:96], v[66:67]
	;; [unrolled: 1-line block ×5, first 2 shown]
	v_fma_f64 v[105:106], v[119:120], s[10:11], v[79:80]
	v_fma_f64 v[107:108], v[60:61], s[12:13], v[89:90]
	v_add_f64 v[95:96], v[111:112], v[117:118]
	v_fma_f64 v[89:90], v[60:61], s[10:11], v[89:90]
	v_fma_f64 v[109:110], v[123:124], s[12:13], v[20:21]
	;; [unrolled: 1-line block ×6, first 2 shown]
	v_add_f64 v[139:140], v[48:49], -v[44:45]
	v_add_f64 v[99:100], v[121:122], v[125:126]
	v_fma_f64 v[115:116], v[129:130], s[10:11], v[91:92]
	v_fma_f64 v[121:122], v[52:53], s[12:13], v[97:98]
	v_add_f64 v[141:142], v[44:45], -v[48:49]
	v_fma_f64 v[117:118], v[133:134], s[12:13], v[24:25]
	v_fma_f64 v[125:126], v[81:82], s[10:11], v[26:27]
	;; [unrolled: 1-line block ×6, first 2 shown]
	v_add_f64 v[62:63], v[62:63], v[127:128]
	v_add_f64 v[127:128], v[131:132], v[143:144]
	;; [unrolled: 1-line block ×7, first 2 shown]
	v_fma_f64 v[56:57], v[123:124], s[6:7], v[105:106]
	v_fma_f64 v[58:59], v[113:114], s[4:5], v[107:108]
	;; [unrolled: 1-line block ×8, first 2 shown]
	v_add_f64 v[101:102], v[135:136], v[139:140]
	v_fma_f64 v[105:106], v[133:134], s[6:7], v[115:116]
	v_fma_f64 v[111:112], v[81:82], s[4:5], v[121:122]
	v_add_f64 v[103:104], v[137:138], v[141:142]
	v_fma_f64 v[107:108], v[129:130], s[6:7], v[117:118]
	v_fma_f64 v[113:114], v[52:53], s[4:5], v[125:126]
	;; [unrolled: 1-line block ×6, first 2 shown]
	v_add_f64 v[20:21], v[54:55], v[72:73]
	v_add_f64 v[22:23], v[64:65], v[74:75]
	;; [unrolled: 1-line block ×4, first 2 shown]
	v_fma_f64 v[44:45], v[93:94], s[14:15], v[56:57]
	v_fma_f64 v[46:47], v[99:100], s[14:15], v[58:59]
	;; [unrolled: 1-line block ×8, first 2 shown]
	v_or_b32_e32 v79, v83, v78
	v_fma_f64 v[60:61], v[101:102], s[14:15], v[105:106]
	v_fma_f64 v[62:63], v[127:128], s[14:15], v[111:112]
	;; [unrolled: 1-line block ×8, first 2 shown]
	v_lshl_add_u32 v79, v79, 4, 0
	ds_write_b128 v79, v[20:23]
	ds_write_b128 v79, v[44:47] offset:32
	ds_write_b128 v79, v[52:55] offset:64
	;; [unrolled: 1-line block ×4, first 2 shown]
	ds_write_b128 v77, v[24:27]
	ds_write_b128 v77, v[60:63] offset:32
	ds_write_b128 v77, v[68:71] offset:64
	;; [unrolled: 1-line block ×4, first 2 shown]
	s_and_saveexec_b32 s1, s0
	s_cbranch_execz .LBB0_25
; %bb.24:
	v_mul_f64 v[20:21], v[8:9], v[42:43]
	v_mul_f64 v[22:23], v[4:5], v[30:31]
	;; [unrolled: 1-line block ×8, first 2 shown]
	v_fma_f64 v[10:11], v[10:11], v[40:41], -v[20:21]
	v_fma_f64 v[6:7], v[6:7], v[28:29], -v[22:23]
	v_fma_f64 v[18:19], v[18:19], v[32:33], -v[24:25]
	v_fma_f64 v[14:15], v[14:15], v[36:37], -v[26:27]
	v_fma_f64 v[8:9], v[8:9], v[40:41], v[42:43]
	v_fma_f64 v[12:13], v[12:13], v[36:37], v[38:39]
	;; [unrolled: 1-line block ×4, first 2 shown]
	v_add_f64 v[32:33], v[2:3], v[6:7]
	v_add_f64 v[20:21], v[6:7], v[18:19]
	;; [unrolled: 1-line block ×3, first 2 shown]
	v_add_f64 v[36:37], v[6:7], -v[18:19]
	v_add_f64 v[24:25], v[8:9], v[12:13]
	v_add_f64 v[34:35], v[0:1], v[4:5]
	;; [unrolled: 1-line block ×3, first 2 shown]
	v_add_f64 v[28:29], v[8:9], -v[12:13]
	v_add_f64 v[30:31], v[4:5], -v[16:17]
	;; [unrolled: 1-line block ×8, first 2 shown]
	v_fma_f64 v[20:21], v[20:21], -0.5, v[2:3]
	v_fma_f64 v[2:3], v[22:23], -0.5, v[2:3]
	v_add_f64 v[22:23], v[10:11], -v[14:15]
	v_fma_f64 v[24:25], v[24:25], -0.5, v[0:1]
	v_add_f64 v[8:9], v[34:35], v[8:9]
	v_fma_f64 v[0:1], v[26:27], -0.5, v[0:1]
	v_add_f64 v[26:27], v[10:11], -v[6:7]
	v_add_f64 v[6:7], v[6:7], -v[10:11]
	v_add_f64 v[10:11], v[32:33], v[10:11]
	v_fma_f64 v[32:33], v[28:29], s[12:13], v[20:21]
	v_fma_f64 v[20:21], v[28:29], s[10:11], v[20:21]
	;; [unrolled: 1-line block ×8, first 2 shown]
	v_add_f64 v[26:27], v[26:27], v[38:39]
	v_add_f64 v[38:39], v[6:7], v[40:41]
	;; [unrolled: 1-line block ×6, first 2 shown]
	v_fma_f64 v[8:9], v[30:31], s[6:7], v[32:33]
	v_fma_f64 v[10:11], v[30:31], s[4:5], v[20:21]
	;; [unrolled: 1-line block ×8, first 2 shown]
	v_lshrrev_b32_e32 v24, 1, v76
	v_add_f64 v[2:3], v[4:5], v[18:19]
	v_add_f64 v[0:1], v[6:7], v[16:17]
	v_fma_f64 v[6:7], v[26:27], s[14:15], v[8:9]
	v_fma_f64 v[10:11], v[26:27], s[14:15], v[10:11]
	v_fma_f64 v[14:15], v[38:39], s[14:15], v[12:13]
	v_fma_f64 v[18:19], v[38:39], s[14:15], v[20:21]
	v_fma_f64 v[16:17], v[42:43], s[14:15], v[28:29]
	v_fma_f64 v[8:9], v[40:41], s[14:15], v[30:31]
	v_fma_f64 v[4:5], v[40:41], s[14:15], v[32:33]
	v_fma_f64 v[12:13], v[42:43], s[14:15], v[22:23]
	v_mul_u32_u24_e32 v20, 10, v24
	v_or_b32_e32 v20, v20, v78
	v_lshl_add_u32 v20, v20, 4, 0
	ds_write_b128 v20, v[0:3]
	ds_write_b128 v20, v[16:19] offset:32
	ds_write_b128 v20, v[8:11] offset:64
	;; [unrolled: 1-line block ×4, first 2 shown]
.LBB0_25:
	s_or_b32 exec_lo, exec_lo, s1
	v_and_b32_e32 v0, 0xff, v84
	v_mov_b32_e32 v1, 10
	s_waitcnt lgkmcnt(0)
	s_barrier
	buffer_gl0_inv
	v_mul_lo_u16 v0, 0xcd, v0
	s_mov_b32 s0, 0xf8bb580b
	s_mov_b32 s6, 0x8764f0ba
	;; [unrolled: 1-line block ×4, first 2 shown]
	v_lshrrev_b16 v85, 11, v0
	s_mov_b32 s10, 0x8eee2c13
	s_mov_b32 s14, 0xd9c712b6
	;; [unrolled: 1-line block ×4, first 2 shown]
	v_mul_lo_u16 v0, v85, 10
	s_mov_b32 s16, 0x43842ef
	s_mov_b32 s18, 0x640f44db
	;; [unrolled: 1-line block ×4, first 2 shown]
	v_sub_nc_u16 v89, v84, v0
	s_mov_b32 s22, 0xbb3a28a1
	s_mov_b32 s26, 0x7f775887
	;; [unrolled: 1-line block ×4, first 2 shown]
	v_mul_u32_u24_sdwa v0, v89, v1 dst_sel:DWORD dst_unused:UNUSED_PAD src0_sel:BYTE_0 src1_sel:DWORD
	s_mov_b32 s28, 0xfd768dbf
	s_mov_b32 s34, 0x9bcd5057
	;; [unrolled: 1-line block ×4, first 2 shown]
	v_lshlrev_b32_e32 v0, 4, v0
	s_mov_b32 s5, 0x3fe14ced
	s_mov_b32 s4, s0
	;; [unrolled: 1-line block ×4, first 2 shown]
	s_clause 0x9
	global_load_dwordx4 v[4:7], v0, s[8:9] offset:128
	global_load_dwordx4 v[12:15], v0, s[8:9] offset:272
	;; [unrolled: 1-line block ×10, first 2 shown]
	ds_read_b128 v[0:3], v88
	ds_read_b128 v[72:75], v88 offset:1760
	ds_read_b128 v[64:67], v88 offset:3520
	;; [unrolled: 1-line block ×10, first 2 shown]
	s_mov_b32 s31, 0x3fd207e7
	s_mov_b32 s12, s10
	;; [unrolled: 1-line block ×6, first 2 shown]
	v_mov_b32_e32 v240, 0x6e0
	v_mov_b32_e32 v241, 4
	s_waitcnt vmcnt(0) lgkmcnt(0)
	s_barrier
	buffer_gl0_inv
	v_mul_f64 v[90:91], v[72:73], v[6:7]
	v_mul_f64 v[6:7], v[74:75], v[6:7]
	;; [unrolled: 1-line block ×20, first 2 shown]
	v_fma_f64 v[74:75], v[74:75], v[4:5], -v[90:91]
	v_fma_f64 v[4:5], v[72:73], v[4:5], v[6:7]
	v_fma_f64 v[78:79], v[78:79], v[12:13], -v[92:93]
	v_fma_f64 v[6:7], v[66:67], v[8:9], -v[94:95]
	;; [unrolled: 1-line block ×3, first 2 shown]
	v_fma_f64 v[72:73], v[76:77], v[12:13], v[14:15]
	v_fma_f64 v[8:9], v[64:65], v[8:9], v[10:11]
	;; [unrolled: 1-line block ×4, first 2 shown]
	v_fma_f64 v[14:15], v[62:63], v[20:21], -v[22:23]
	v_fma_f64 v[20:21], v[70:71], v[40:41], -v[100:101]
	v_fma_f64 v[22:23], v[68:69], v[40:41], v[42:43]
	v_fma_f64 v[32:33], v[52:53], v[36:37], v[102:103]
	v_fma_f64 v[34:35], v[54:55], v[36:37], -v[38:39]
	v_fma_f64 v[36:37], v[58:59], v[28:29], -v[104:105]
	v_fma_f64 v[28:29], v[56:57], v[28:29], v[30:31]
	v_fma_f64 v[30:31], v[48:49], v[24:25], v[106:107]
	v_fma_f64 v[24:25], v[50:51], v[24:25], -v[26:27]
	v_fma_f64 v[26:27], v[46:47], v[16:17], -v[108:109]
	v_fma_f64 v[16:17], v[44:45], v[16:17], v[18:19]
	v_add_f64 v[42:43], v[2:3], v[74:75]
	v_add_f64 v[40:41], v[0:1], v[4:5]
	v_add_f64 v[18:19], v[74:75], -v[78:79]
	v_add_f64 v[38:39], v[74:75], v[78:79]
	v_add_f64 v[44:45], v[6:7], -v[66:67]
	v_add_f64 v[46:47], v[6:7], v[66:67]
	v_add_f64 v[48:49], v[4:5], v[72:73]
	;; [unrolled: 1-line block ×3, first 2 shown]
	v_add_f64 v[52:53], v[8:9], -v[10:11]
	v_add_f64 v[4:5], v[4:5], -v[72:73]
	;; [unrolled: 1-line block ×3, first 2 shown]
	v_add_f64 v[58:59], v[14:15], v[20:21]
	v_add_f64 v[56:57], v[12:13], v[22:23]
	v_add_f64 v[60:61], v[12:13], -v[22:23]
	v_add_f64 v[62:63], v[34:35], -v[36:37]
	v_add_f64 v[68:69], v[34:35], v[36:37]
	v_add_f64 v[64:65], v[32:33], v[28:29]
	v_add_f64 v[70:71], v[32:33], -v[28:29]
	v_add_f64 v[74:75], v[24:25], -v[26:27]
	v_add_f64 v[80:81], v[24:25], v[26:27]
	v_add_f64 v[76:77], v[30:31], v[16:17]
	v_add_f64 v[82:83], v[30:31], -v[16:17]
	v_add_f64 v[6:7], v[42:43], v[6:7]
	v_add_f64 v[8:9], v[40:41], v[8:9]
	v_mul_f64 v[90:91], v[18:19], s[0:1]
	v_mul_f64 v[92:93], v[38:39], s[6:7]
	;; [unrolled: 1-line block ×20, first 2 shown]
	v_add_f64 v[6:7], v[6:7], v[14:15]
	v_add_f64 v[8:9], v[8:9], v[12:13]
	v_fma_f64 v[166:167], v[48:49], s[6:7], v[90:91]
	v_fma_f64 v[168:169], v[4:5], s[4:5], v[92:93]
	v_mul_f64 v[118:119], v[54:55], s[16:17]
	v_mul_f64 v[120:121], v[54:55], s[30:31]
	;; [unrolled: 1-line block ×18, first 2 shown]
	v_add_f64 v[6:7], v[6:7], v[34:35]
	v_add_f64 v[8:9], v[8:9], v[32:33]
	v_mul_f64 v[148:149], v[68:69], s[34:35]
	v_mul_f64 v[68:69], v[68:69], s[14:15]
	;; [unrolled: 1-line block ×12, first 2 shown]
	v_fma_f64 v[90:91], v[48:49], s[6:7], -v[90:91]
	v_fma_f64 v[92:93], v[4:5], s[0:1], v[92:93]
	v_fma_f64 v[170:171], v[48:49], s[14:15], v[40:41]
	;; [unrolled: 1-line block ×3, first 2 shown]
	v_fma_f64 v[40:41], v[48:49], s[14:15], -v[40:41]
	v_fma_f64 v[174:175], v[48:49], s[18:19], v[94:95]
	v_fma_f64 v[176:177], v[4:5], s[20:21], v[96:97]
	v_fma_f64 v[94:95], v[48:49], s[18:19], -v[94:95]
	v_fma_f64 v[178:179], v[48:49], s[26:27], v[98:99]
	v_fma_f64 v[180:181], v[4:5], s[24:25], v[100:101]
	;; [unrolled: 3-line block ×3, first 2 shown]
	v_fma_f64 v[42:43], v[4:5], s[10:11], v[42:43]
	v_fma_f64 v[96:97], v[4:5], s[16:17], v[96:97]
	;; [unrolled: 1-line block ×3, first 2 shown]
	v_fma_f64 v[18:19], v[48:49], s[34:35], -v[18:19]
	v_fma_f64 v[4:5], v[4:5], s[28:29], v[38:39]
	v_add_f64 v[8:9], v[8:9], v[30:31]
	v_add_f64 v[6:7], v[6:7], v[24:25]
	v_fma_f64 v[38:39], v[50:51], s[14:15], v[102:103]
	v_fma_f64 v[48:49], v[52:53], s[12:13], v[104:105]
	v_add_f64 v[24:25], v[0:1], v[166:167]
	v_add_f64 v[30:31], v[2:3], v[168:169]
	v_fma_f64 v[102:103], v[50:51], s[14:15], -v[102:103]
	v_fma_f64 v[104:105], v[52:53], s[10:11], v[104:105]
	v_fma_f64 v[186:187], v[50:51], s[26:27], v[106:107]
	v_fma_f64 v[188:189], v[52:53], s[24:25], v[108:109]
	v_fma_f64 v[106:107], v[50:51], s[26:27], -v[106:107]
	v_fma_f64 v[108:109], v[52:53], s[22:23], v[108:109]
	v_fma_f64 v[190:191], v[50:51], s[34:35], v[110:111]
	v_fma_f64 v[192:193], v[52:53], s[28:29], v[112:113]
	;; [unrolled: 4-line block ×3, first 2 shown]
	v_fma_f64 v[114:115], v[50:51], s[18:19], -v[114:115]
	v_fma_f64 v[116:117], v[52:53], s[20:21], v[116:117]
	v_fma_f64 v[198:199], v[50:51], s[6:7], v[44:45]
	v_fma_f64 v[44:45], v[50:51], s[6:7], -v[44:45]
	v_fma_f64 v[50:51], v[52:53], s[0:1], v[46:47]
	v_fma_f64 v[46:47], v[52:53], s[4:5], v[46:47]
	v_fma_f64 v[52:53], v[56:57], s[18:19], v[118:119]
	v_fma_f64 v[118:119], v[56:57], s[18:19], -v[118:119]
	v_fma_f64 v[200:201], v[56:57], s[34:35], v[120:121]
	v_fma_f64 v[120:121], v[56:57], s[34:35], -v[120:121]
	v_fma_f64 v[202:203], v[56:57], s[14:15], v[122:123]
	v_fma_f64 v[122:123], v[56:57], s[14:15], -v[122:123]
	v_fma_f64 v[204:205], v[56:57], s[6:7], v[124:125]
	v_fma_f64 v[124:125], v[56:57], s[6:7], -v[124:125]
	v_fma_f64 v[206:207], v[56:57], s[26:27], v[54:55]
	v_fma_f64 v[54:55], v[56:57], s[26:27], -v[54:55]
	v_fma_f64 v[12:13], v[60:61], s[20:21], v[126:127]
	v_fma_f64 v[14:15], v[60:61], s[16:17], v[126:127]
	v_fma_f64 v[56:57], v[60:61], s[28:29], v[128:129]
	v_fma_f64 v[126:127], v[60:61], s[30:31], v[128:129]
	v_fma_f64 v[128:129], v[60:61], s[10:11], v[130:131]
	v_fma_f64 v[130:131], v[60:61], s[12:13], v[130:131]
	v_fma_f64 v[208:209], v[60:61], s[4:5], v[132:133]
	v_fma_f64 v[132:133], v[60:61], s[0:1], v[132:133]
	v_fma_f64 v[210:211], v[60:61], s[24:25], v[58:59]
	v_fma_f64 v[58:59], v[60:61], s[22:23], v[58:59]
	v_fma_f64 v[60:61], v[64:65], s[26:27], v[134:135]
	v_fma_f64 v[134:135], v[64:65], s[26:27], -v[134:135]
	v_fma_f64 v[212:213], v[64:65], s[18:19], v[136:137]
	v_fma_f64 v[136:137], v[64:65], s[18:19], -v[136:137]
	v_fma_f64 v[214:215], v[64:65], s[6:7], v[138:139]
	v_fma_f64 v[138:139], v[64:65], s[6:7], -v[138:139]
	v_fma_f64 v[216:217], v[64:65], s[34:35], v[140:141]
	v_fma_f64 v[140:141], v[64:65], s[34:35], -v[140:141]
	v_fma_f64 v[218:219], v[64:65], s[14:15], v[62:63]
	v_fma_f64 v[62:63], v[64:65], s[14:15], -v[62:63]
	v_fma_f64 v[64:65], v[70:71], s[24:25], v[142:143]
	v_fma_f64 v[142:143], v[70:71], s[22:23], v[142:143]
	v_fma_f64 v[220:221], v[70:71], s[16:17], v[144:145]
	v_fma_f64 v[144:145], v[70:71], s[20:21], v[144:145]
	v_fma_f64 v[222:223], v[70:71], s[4:5], v[146:147]
	v_fma_f64 v[146:147], v[70:71], s[0:1], v[146:147]
	v_fma_f64 v[224:225], v[70:71], s[30:31], v[148:149]
	v_fma_f64 v[148:149], v[70:71], s[28:29], v[148:149]
	;; [unrolled: 20-line block ×3, first 2 shown]
	v_fma_f64 v[238:239], v[82:83], s[20:21], v[80:81]
	v_fma_f64 v[80:81], v[82:83], s[16:17], v[80:81]
	v_add_f64 v[82:83], v[0:1], v[90:91]
	v_add_f64 v[90:91], v[2:3], v[92:93]
	;; [unrolled: 1-line block ×108, first 2 shown]
	v_mul_u32_u24_sdwa v44, v85, v240 dst_sel:DWORD dst_unused:UNUSED_PAD src0_sel:WORD_0 src1_sel:DWORD
	v_lshlrev_b32_sdwa v45, v241, v89 dst_sel:DWORD dst_unused:UNUSED_PAD src0_sel:DWORD src1_sel:BYTE_0
	v_mul_u32_u24_e32 v46, 10, v84
	v_add3_u32 v44, 0, v44, v45
	v_lshlrev_b32_e32 v48, 4, v46
	ds_write_b128 v44, v[0:3] offset:160
	ds_write_b128 v44, v[8:11] offset:320
	;; [unrolled: 1-line block ×10, first 2 shown]
	ds_write_b128 v44, v[40:43]
	s_waitcnt lgkmcnt(0)
	s_barrier
	buffer_gl0_inv
	s_clause 0x9
	global_load_dwordx4 v[6:9], v48, s[8:9] offset:1728
	global_load_dwordx4 v[10:13], v48, s[8:9] offset:1872
	;; [unrolled: 1-line block ×10, first 2 shown]
	ds_read_b128 v[52:55], v88 offset:1760
	ds_read_b128 v[56:59], v88 offset:17600
	;; [unrolled: 1-line block ×10, first 2 shown]
	ds_read_b128 v[0:3], v88
	s_waitcnt vmcnt(0) lgkmcnt(0)
	s_barrier
	buffer_gl0_inv
	v_mul_f64 v[4:5], v[52:53], v[8:9]
	v_mul_f64 v[8:9], v[54:55], v[8:9]
	v_mul_f64 v[26:27], v[56:57], v[12:13]
	v_mul_f64 v[32:33], v[60:61], v[16:17]
	v_mul_f64 v[38:39], v[64:65], v[20:21]
	v_mul_f64 v[12:13], v[58:59], v[12:13]
	v_mul_f64 v[16:17], v[62:63], v[16:17]
	v_mul_f64 v[20:21], v[66:67], v[20:21]
	v_mul_f64 v[97:98], v[68:69], v[24:25]
	v_mul_f64 v[99:100], v[72:73], v[30:31]
	v_mul_f64 v[24:25], v[70:71], v[24:25]
	v_mul_f64 v[30:31], v[74:75], v[30:31]
	v_mul_f64 v[101:102], v[78:79], v[36:37]
	v_mul_f64 v[103:104], v[76:77], v[36:37]
	v_mul_f64 v[105:106], v[80:81], v[42:43]
	v_mul_f64 v[42:43], v[82:83], v[42:43]
	v_mul_f64 v[109:110], v[93:94], v[50:51]
	v_mul_f64 v[50:51], v[95:96], v[50:51]
	v_mul_f64 v[107:108], v[91:92], v[46:47]
	v_mul_f64 v[46:47], v[89:90], v[46:47]
	v_fma_f64 v[111:112], v[54:55], v[6:7], -v[4:5]
	v_fma_f64 v[113:114], v[52:53], v[6:7], v[8:9]
	v_fma_f64 v[4:5], v[58:59], v[10:11], -v[26:27]
	v_fma_f64 v[36:37], v[62:63], v[14:15], -v[32:33]
	;; [unrolled: 1-line block ×3, first 2 shown]
	v_fma_f64 v[6:7], v[56:57], v[10:11], v[12:13]
	v_fma_f64 v[38:39], v[60:61], v[14:15], v[16:17]
	v_fma_f64 v[10:11], v[64:65], v[18:19], v[20:21]
	v_fma_f64 v[18:19], v[70:71], v[22:23], -v[97:98]
	v_fma_f64 v[12:13], v[74:75], v[28:29], -v[99:100]
	v_fma_f64 v[26:27], v[68:69], v[22:23], v[24:25]
	v_fma_f64 v[14:15], v[72:73], v[28:29], v[30:31]
	;; [unrolled: 1-line block ×3, first 2 shown]
	v_fma_f64 v[34:35], v[78:79], v[34:35], -v[103:104]
	v_fma_f64 v[16:17], v[82:83], v[40:41], -v[105:106]
	v_fma_f64 v[20:21], v[80:81], v[40:41], v[42:43]
	v_fma_f64 v[22:23], v[95:96], v[48:49], -v[109:110]
	v_fma_f64 v[24:25], v[93:94], v[48:49], v[50:51]
	v_fma_f64 v[28:29], v[89:90], v[44:45], v[107:108]
	v_fma_f64 v[30:31], v[91:92], v[44:45], -v[46:47]
	v_add_f64 v[58:59], v[2:3], v[111:112]
	v_add_f64 v[56:57], v[0:1], v[113:114]
	v_add_f64 v[54:55], v[111:112], -v[4:5]
	v_add_f64 v[52:53], v[111:112], v[4:5]
	v_add_f64 v[50:51], v[36:37], -v[8:9]
	v_add_f64 v[48:49], v[36:37], v[8:9]
	v_add_f64 v[44:45], v[113:114], v[6:7]
	;; [unrolled: 1-line block ×3, first 2 shown]
	v_add_f64 v[40:41], v[38:39], -v[10:11]
	v_add_f64 v[60:61], v[18:19], -v[12:13]
	v_add_f64 v[64:65], v[18:19], v[12:13]
	v_add_f64 v[62:63], v[26:27], v[14:15]
	v_add_f64 v[66:67], v[26:27], -v[14:15]
	v_add_f64 v[46:47], v[113:114], -v[6:7]
	;; [unrolled: 1-line block ×3, first 2 shown]
	v_add_f64 v[72:73], v[34:35], v[16:17]
	v_add_f64 v[70:71], v[32:33], v[20:21]
	v_add_f64 v[74:75], v[32:33], -v[20:21]
	v_add_f64 v[78:79], v[28:29], v[24:25]
	v_add_f64 v[76:77], v[30:31], -v[22:23]
	;; [unrolled: 2-line block ×3, first 2 shown]
	v_add_f64 v[36:37], v[58:59], v[36:37]
	v_add_f64 v[38:39], v[56:57], v[38:39]
	v_mul_f64 v[89:90], v[54:55], s[0:1]
	v_mul_f64 v[91:92], v[52:53], s[6:7]
	;; [unrolled: 1-line block ×20, first 2 shown]
	v_add_f64 v[18:19], v[36:37], v[18:19]
	v_add_f64 v[26:27], v[38:39], v[26:27]
	v_fma_f64 v[165:166], v[44:45], s[6:7], v[89:90]
	v_fma_f64 v[167:168], v[46:47], s[4:5], v[91:92]
	v_mul_f64 v[117:118], v[60:61], s[16:17]
	v_mul_f64 v[119:120], v[60:61], s[30:31]
	v_mul_f64 v[121:122], v[60:61], s[12:13]
	v_mul_f64 v[123:124], v[60:61], s[0:1]
	v_mul_f64 v[60:61], v[60:61], s[22:23]
	v_mul_f64 v[125:126], v[64:65], s[18:19]
	v_mul_f64 v[127:128], v[64:65], s[34:35]
	v_mul_f64 v[129:130], v[64:65], s[14:15]
	v_mul_f64 v[131:132], v[64:65], s[6:7]
	v_mul_f64 v[64:65], v[64:65], s[26:27]
	v_mul_f64 v[133:134], v[68:69], s[22:23]
	v_mul_f64 v[135:136], v[68:69], s[20:21]
	v_mul_f64 v[137:138], v[68:69], s[0:1]
	v_mul_f64 v[139:140], v[68:69], s[28:29]
	v_mul_f64 v[68:69], v[68:69], s[12:13]
	v_mul_f64 v[141:142], v[72:73], s[26:27]
	v_mul_f64 v[143:144], v[72:73], s[18:19]
	v_mul_f64 v[145:146], v[72:73], s[6:7]
	v_add_f64 v[18:19], v[18:19], v[34:35]
	v_add_f64 v[26:27], v[26:27], v[32:33]
	v_mul_f64 v[147:148], v[72:73], s[34:35]
	v_mul_f64 v[72:73], v[72:73], s[14:15]
	;; [unrolled: 1-line block ×12, first 2 shown]
	v_fma_f64 v[89:90], v[44:45], s[6:7], -v[89:90]
	v_fma_f64 v[91:92], v[46:47], s[0:1], v[91:92]
	v_fma_f64 v[169:170], v[44:45], s[14:15], v[56:57]
	v_fma_f64 v[171:172], v[46:47], s[12:13], v[58:59]
	v_fma_f64 v[56:57], v[44:45], s[14:15], -v[56:57]
	v_fma_f64 v[173:174], v[44:45], s[18:19], v[93:94]
	v_fma_f64 v[175:176], v[46:47], s[20:21], v[95:96]
	v_fma_f64 v[93:94], v[44:45], s[18:19], -v[93:94]
	v_fma_f64 v[177:178], v[44:45], s[26:27], v[97:98]
	v_fma_f64 v[179:180], v[46:47], s[24:25], v[99:100]
	;; [unrolled: 1-line block ×6, first 2 shown]
	v_fma_f64 v[97:98], v[44:45], s[26:27], -v[97:98]
	v_fma_f64 v[99:100], v[46:47], s[22:23], v[99:100]
	v_fma_f64 v[44:45], v[44:45], s[34:35], -v[54:55]
	v_fma_f64 v[46:47], v[46:47], s[28:29], v[52:53]
	v_add_f64 v[26:27], v[26:27], v[28:29]
	v_add_f64 v[18:19], v[18:19], v[30:31]
	v_fma_f64 v[52:53], v[42:43], s[14:15], v[101:102]
	v_fma_f64 v[54:55], v[40:41], s[12:13], v[103:104]
	v_add_f64 v[28:29], v[0:1], v[165:166]
	v_add_f64 v[30:31], v[2:3], v[167:168]
	v_fma_f64 v[101:102], v[42:43], s[14:15], -v[101:102]
	v_fma_f64 v[103:104], v[40:41], s[10:11], v[103:104]
	v_fma_f64 v[185:186], v[42:43], s[26:27], v[105:106]
	v_fma_f64 v[187:188], v[40:41], s[24:25], v[107:108]
	v_fma_f64 v[105:106], v[42:43], s[26:27], -v[105:106]
	v_fma_f64 v[107:108], v[40:41], s[22:23], v[107:108]
	v_fma_f64 v[189:190], v[42:43], s[34:35], v[109:110]
	v_fma_f64 v[191:192], v[40:41], s[28:29], v[111:112]
	;; [unrolled: 4-line block ×3, first 2 shown]
	v_fma_f64 v[113:114], v[42:43], s[18:19], -v[113:114]
	v_fma_f64 v[115:116], v[40:41], s[20:21], v[115:116]
	v_fma_f64 v[197:198], v[42:43], s[6:7], v[50:51]
	v_fma_f64 v[42:43], v[42:43], s[6:7], -v[50:51]
	v_fma_f64 v[50:51], v[40:41], s[0:1], v[48:49]
	v_fma_f64 v[40:41], v[40:41], s[4:5], v[48:49]
	v_fma_f64 v[48:49], v[62:63], s[18:19], v[117:118]
	v_fma_f64 v[117:118], v[62:63], s[18:19], -v[117:118]
	v_fma_f64 v[199:200], v[62:63], s[34:35], v[119:120]
	v_fma_f64 v[119:120], v[62:63], s[34:35], -v[119:120]
	v_fma_f64 v[201:202], v[62:63], s[14:15], v[121:122]
	v_fma_f64 v[121:122], v[62:63], s[14:15], -v[121:122]
	v_fma_f64 v[203:204], v[62:63], s[6:7], v[123:124]
	v_fma_f64 v[123:124], v[62:63], s[6:7], -v[123:124]
	v_fma_f64 v[205:206], v[62:63], s[26:27], v[60:61]
	v_fma_f64 v[60:61], v[62:63], s[26:27], -v[60:61]
	v_fma_f64 v[36:37], v[66:67], s[20:21], v[125:126]
	v_fma_f64 v[38:39], v[66:67], s[16:17], v[125:126]
	v_fma_f64 v[62:63], v[66:67], s[28:29], v[127:128]
	v_fma_f64 v[125:126], v[66:67], s[30:31], v[127:128]
	v_fma_f64 v[127:128], v[66:67], s[10:11], v[129:130]
	v_fma_f64 v[129:130], v[66:67], s[12:13], v[129:130]
	v_fma_f64 v[207:208], v[66:67], s[4:5], v[131:132]
	v_fma_f64 v[131:132], v[66:67], s[0:1], v[131:132]
	v_fma_f64 v[209:210], v[66:67], s[24:25], v[64:65]
	v_fma_f64 v[64:65], v[66:67], s[22:23], v[64:65]
	v_fma_f64 v[66:67], v[70:71], s[26:27], v[133:134]
	v_fma_f64 v[133:134], v[70:71], s[26:27], -v[133:134]
	v_fma_f64 v[211:212], v[70:71], s[18:19], v[135:136]
	v_fma_f64 v[135:136], v[70:71], s[18:19], -v[135:136]
	v_fma_f64 v[213:214], v[70:71], s[6:7], v[137:138]
	v_fma_f64 v[137:138], v[70:71], s[6:7], -v[137:138]
	v_fma_f64 v[215:216], v[70:71], s[34:35], v[139:140]
	v_fma_f64 v[139:140], v[70:71], s[34:35], -v[139:140]
	v_fma_f64 v[217:218], v[70:71], s[14:15], v[68:69]
	v_fma_f64 v[68:69], v[70:71], s[14:15], -v[68:69]
	v_fma_f64 v[70:71], v[74:75], s[24:25], v[141:142]
	v_fma_f64 v[141:142], v[74:75], s[22:23], v[141:142]
	v_fma_f64 v[219:220], v[74:75], s[16:17], v[143:144]
	v_fma_f64 v[143:144], v[74:75], s[20:21], v[143:144]
	v_fma_f64 v[221:222], v[74:75], s[4:5], v[145:146]
	v_fma_f64 v[145:146], v[74:75], s[0:1], v[145:146]
	v_fma_f64 v[223:224], v[74:75], s[30:31], v[147:148]
	v_fma_f64 v[147:148], v[74:75], s[28:29], v[147:148]
	;; [unrolled: 20-line block ×3, first 2 shown]
	v_fma_f64 v[237:238], v[82:83], s[20:21], v[80:81]
	v_fma_f64 v[80:81], v[82:83], s[16:17], v[80:81]
	v_add_f64 v[82:83], v[0:1], v[89:90]
	v_add_f64 v[89:90], v[2:3], v[91:92]
	;; [unrolled: 1-line block ×108, first 2 shown]
	ds_write_b128 v88, v[0:3] offset:1760
	ds_write_b128 v88, v[12:15] offset:3520
	;; [unrolled: 1-line block ×10, first 2 shown]
	ds_write_b128 v88, v[44:47]
	s_waitcnt lgkmcnt(0)
	s_barrier
	buffer_gl0_inv
	s_and_saveexec_b32 s0, vcc_lo
	s_cbranch_execz .LBB0_27
; %bb.26:
	v_lshl_add_u32 v28, v84, 4, 0
	v_mov_b32_e32 v85, 0
	v_add_nc_u32_e32 v8, 0x6e, v84
	v_add_co_u32 v30, vcc_lo, s2, v86
	ds_read_b128 v[0:3], v28
	ds_read_b128 v[4:7], v28 offset:1760
	v_mov_b32_e32 v9, v85
	v_lshlrev_b64 v[10:11], 4, v[84:85]
	v_add_co_ci_u32_e32 v31, vcc_lo, s3, v87, vcc_lo
	v_add_nc_u32_e32 v12, 0xdc, v84
	v_lshlrev_b64 v[8:9], 4, v[8:9]
	v_mov_b32_e32 v13, v85
	v_add_co_u32 v10, vcc_lo, v30, v10
	v_add_co_ci_u32_e32 v11, vcc_lo, v31, v11, vcc_lo
	v_add_co_u32 v8, vcc_lo, v30, v8
	v_add_co_ci_u32_e32 v9, vcc_lo, v31, v9, vcc_lo
	v_lshlrev_b64 v[12:13], 4, v[12:13]
	v_add_nc_u32_e32 v14, 0x14a, v84
	v_mov_b32_e32 v15, v85
	v_add_nc_u32_e32 v22, 0x226, v84
	s_waitcnt lgkmcnt(1)
	global_store_dwordx4 v[10:11], v[0:3], off
	s_waitcnt lgkmcnt(0)
	global_store_dwordx4 v[8:9], v[4:7], off
	v_add_nc_u32_e32 v8, 0x1b8, v84
	v_mov_b32_e32 v9, v85
	ds_read_b128 v[0:3], v28 offset:3520
	ds_read_b128 v[4:7], v28 offset:5280
	v_add_co_u32 v16, vcc_lo, v30, v12
	v_add_co_ci_u32_e32 v17, vcc_lo, v31, v13, vcc_lo
	v_lshlrev_b64 v[18:19], 4, v[14:15]
	v_lshlrev_b64 v[20:21], 4, v[8:9]
	ds_read_b128 v[8:11], v28 offset:7040
	ds_read_b128 v[12:15], v28 offset:8800
	v_mov_b32_e32 v23, v85
	v_add_nc_u32_e32 v24, 0x294, v84
	v_mov_b32_e32 v25, v85
	v_add_co_u32 v18, vcc_lo, v30, v18
	v_lshlrev_b64 v[22:23], 4, v[22:23]
	v_add_co_ci_u32_e32 v19, vcc_lo, v31, v19, vcc_lo
	v_add_co_u32 v20, vcc_lo, v30, v20
	v_add_co_ci_u32_e32 v21, vcc_lo, v31, v21, vcc_lo
	v_add_co_u32 v22, vcc_lo, v30, v22
	s_waitcnt lgkmcnt(3)
	global_store_dwordx4 v[16:17], v[0:3], off
	s_waitcnt lgkmcnt(2)
	global_store_dwordx4 v[18:19], v[4:7], off
	v_add_nc_u32_e32 v2, 0x302, v84
	v_mov_b32_e32 v3, v85
	v_add_co_ci_u32_e32 v23, vcc_lo, v31, v23, vcc_lo
	v_lshlrev_b64 v[0:1], 4, v[24:25]
	s_waitcnt lgkmcnt(1)
	global_store_dwordx4 v[20:21], v[8:11], off
	s_waitcnt lgkmcnt(0)
	global_store_dwordx4 v[22:23], v[12:15], off
	v_lshlrev_b64 v[8:9], 4, v[2:3]
	v_add_nc_u32_e32 v10, 0x370, v84
	v_mov_b32_e32 v11, v85
	v_add_co_u32 v20, vcc_lo, v30, v0
	v_add_co_ci_u32_e32 v21, vcc_lo, v31, v1, vcc_lo
	v_add_co_u32 v22, vcc_lo, v30, v8
	ds_read_b128 v[0:3], v28 offset:10560
	ds_read_b128 v[4:7], v28 offset:12320
	v_add_co_ci_u32_e32 v23, vcc_lo, v31, v9, vcc_lo
	v_lshlrev_b64 v[26:27], 4, v[10:11]
	ds_read_b128 v[8:11], v28 offset:14080
	ds_read_b128 v[12:15], v28 offset:15840
	;; [unrolled: 1-line block ×3, first 2 shown]
	v_add_nc_u32_e32 v24, 0x3de, v84
	v_add_nc_u32_e32 v84, 0x44c, v84
	v_add_co_u32 v26, vcc_lo, v30, v26
	v_lshlrev_b64 v[24:25], 4, v[24:25]
	v_lshlrev_b64 v[28:29], 4, v[84:85]
	v_add_co_ci_u32_e32 v27, vcc_lo, v31, v27, vcc_lo
	v_add_co_u32 v24, vcc_lo, v30, v24
	v_add_co_ci_u32_e32 v25, vcc_lo, v31, v25, vcc_lo
	v_add_co_u32 v28, vcc_lo, v30, v28
	v_add_co_ci_u32_e32 v29, vcc_lo, v31, v29, vcc_lo
	s_waitcnt lgkmcnt(4)
	global_store_dwordx4 v[20:21], v[0:3], off
	s_waitcnt lgkmcnt(3)
	global_store_dwordx4 v[22:23], v[4:7], off
	s_waitcnt lgkmcnt(2)
	global_store_dwordx4 v[26:27], v[8:11], off
	s_waitcnt lgkmcnt(1)
	global_store_dwordx4 v[24:25], v[12:15], off
	s_waitcnt lgkmcnt(0)
	global_store_dwordx4 v[28:29], v[16:19], off
.LBB0_27:
	s_endpgm
	.section	.rodata,"a",@progbits
	.p2align	6, 0x0
	.amdhsa_kernel fft_rtc_back_len1210_factors_2_5_11_11_wgs_110_tpt_110_halfLds_dp_ip_CI_unitstride_sbrr_C2R_dirReg
		.amdhsa_group_segment_fixed_size 0
		.amdhsa_private_segment_fixed_size 0
		.amdhsa_kernarg_size 88
		.amdhsa_user_sgpr_count 6
		.amdhsa_user_sgpr_private_segment_buffer 1
		.amdhsa_user_sgpr_dispatch_ptr 0
		.amdhsa_user_sgpr_queue_ptr 0
		.amdhsa_user_sgpr_kernarg_segment_ptr 1
		.amdhsa_user_sgpr_dispatch_id 0
		.amdhsa_user_sgpr_flat_scratch_init 0
		.amdhsa_user_sgpr_private_segment_size 0
		.amdhsa_wavefront_size32 1
		.amdhsa_uses_dynamic_stack 0
		.amdhsa_system_sgpr_private_segment_wavefront_offset 0
		.amdhsa_system_sgpr_workgroup_id_x 1
		.amdhsa_system_sgpr_workgroup_id_y 0
		.amdhsa_system_sgpr_workgroup_id_z 0
		.amdhsa_system_sgpr_workgroup_info 0
		.amdhsa_system_vgpr_workitem_id 0
		.amdhsa_next_free_vgpr 242
		.amdhsa_next_free_sgpr 36
		.amdhsa_reserve_vcc 1
		.amdhsa_reserve_flat_scratch 0
		.amdhsa_float_round_mode_32 0
		.amdhsa_float_round_mode_16_64 0
		.amdhsa_float_denorm_mode_32 3
		.amdhsa_float_denorm_mode_16_64 3
		.amdhsa_dx10_clamp 1
		.amdhsa_ieee_mode 1
		.amdhsa_fp16_overflow 0
		.amdhsa_workgroup_processor_mode 1
		.amdhsa_memory_ordered 1
		.amdhsa_forward_progress 0
		.amdhsa_shared_vgpr_count 0
		.amdhsa_exception_fp_ieee_invalid_op 0
		.amdhsa_exception_fp_denorm_src 0
		.amdhsa_exception_fp_ieee_div_zero 0
		.amdhsa_exception_fp_ieee_overflow 0
		.amdhsa_exception_fp_ieee_underflow 0
		.amdhsa_exception_fp_ieee_inexact 0
		.amdhsa_exception_int_div_zero 0
	.end_amdhsa_kernel
	.text
.Lfunc_end0:
	.size	fft_rtc_back_len1210_factors_2_5_11_11_wgs_110_tpt_110_halfLds_dp_ip_CI_unitstride_sbrr_C2R_dirReg, .Lfunc_end0-fft_rtc_back_len1210_factors_2_5_11_11_wgs_110_tpt_110_halfLds_dp_ip_CI_unitstride_sbrr_C2R_dirReg
                                        ; -- End function
	.section	.AMDGPU.csdata,"",@progbits
; Kernel info:
; codeLenInByte = 12320
; NumSgprs: 38
; NumVgprs: 242
; ScratchSize: 0
; MemoryBound: 0
; FloatMode: 240
; IeeeMode: 1
; LDSByteSize: 0 bytes/workgroup (compile time only)
; SGPRBlocks: 4
; VGPRBlocks: 30
; NumSGPRsForWavesPerEU: 38
; NumVGPRsForWavesPerEU: 242
; Occupancy: 4
; WaveLimiterHint : 1
; COMPUTE_PGM_RSRC2:SCRATCH_EN: 0
; COMPUTE_PGM_RSRC2:USER_SGPR: 6
; COMPUTE_PGM_RSRC2:TRAP_HANDLER: 0
; COMPUTE_PGM_RSRC2:TGID_X_EN: 1
; COMPUTE_PGM_RSRC2:TGID_Y_EN: 0
; COMPUTE_PGM_RSRC2:TGID_Z_EN: 0
; COMPUTE_PGM_RSRC2:TIDIG_COMP_CNT: 0
	.text
	.p2alignl 6, 3214868480
	.fill 48, 4, 3214868480
	.type	__hip_cuid_167878f2c5beddbe,@object ; @__hip_cuid_167878f2c5beddbe
	.section	.bss,"aw",@nobits
	.globl	__hip_cuid_167878f2c5beddbe
__hip_cuid_167878f2c5beddbe:
	.byte	0                               ; 0x0
	.size	__hip_cuid_167878f2c5beddbe, 1

	.ident	"AMD clang version 19.0.0git (https://github.com/RadeonOpenCompute/llvm-project roc-6.4.0 25133 c7fe45cf4b819c5991fe208aaa96edf142730f1d)"
	.section	".note.GNU-stack","",@progbits
	.addrsig
	.addrsig_sym __hip_cuid_167878f2c5beddbe
	.amdgpu_metadata
---
amdhsa.kernels:
  - .args:
      - .actual_access:  read_only
        .address_space:  global
        .offset:         0
        .size:           8
        .value_kind:     global_buffer
      - .offset:         8
        .size:           8
        .value_kind:     by_value
      - .actual_access:  read_only
        .address_space:  global
        .offset:         16
        .size:           8
        .value_kind:     global_buffer
      - .actual_access:  read_only
        .address_space:  global
        .offset:         24
        .size:           8
        .value_kind:     global_buffer
      - .offset:         32
        .size:           8
        .value_kind:     by_value
      - .actual_access:  read_only
        .address_space:  global
        .offset:         40
        .size:           8
        .value_kind:     global_buffer
      - .actual_access:  read_only
        .address_space:  global
        .offset:         48
        .size:           8
        .value_kind:     global_buffer
      - .offset:         56
        .size:           4
        .value_kind:     by_value
      - .actual_access:  read_only
        .address_space:  global
        .offset:         64
        .size:           8
        .value_kind:     global_buffer
      - .actual_access:  read_only
        .address_space:  global
        .offset:         72
        .size:           8
        .value_kind:     global_buffer
      - .address_space:  global
        .offset:         80
        .size:           8
        .value_kind:     global_buffer
    .group_segment_fixed_size: 0
    .kernarg_segment_align: 8
    .kernarg_segment_size: 88
    .language:       OpenCL C
    .language_version:
      - 2
      - 0
    .max_flat_workgroup_size: 110
    .name:           fft_rtc_back_len1210_factors_2_5_11_11_wgs_110_tpt_110_halfLds_dp_ip_CI_unitstride_sbrr_C2R_dirReg
    .private_segment_fixed_size: 0
    .sgpr_count:     38
    .sgpr_spill_count: 0
    .symbol:         fft_rtc_back_len1210_factors_2_5_11_11_wgs_110_tpt_110_halfLds_dp_ip_CI_unitstride_sbrr_C2R_dirReg.kd
    .uniform_work_group_size: 1
    .uses_dynamic_stack: false
    .vgpr_count:     242
    .vgpr_spill_count: 0
    .wavefront_size: 32
    .workgroup_processor_mode: 1
amdhsa.target:   amdgcn-amd-amdhsa--gfx1030
amdhsa.version:
  - 1
  - 2
...

	.end_amdgpu_metadata
